;; amdgpu-corpus repo=ROCm/rocFFT kind=compiled arch=gfx1030 opt=O3
	.text
	.amdgcn_target "amdgcn-amd-amdhsa--gfx1030"
	.amdhsa_code_object_version 6
	.protected	fft_rtc_back_len154_factors_11_7_2_wgs_110_tpt_22_sp_ip_CI_unitstride_sbrr_dirReg ; -- Begin function fft_rtc_back_len154_factors_11_7_2_wgs_110_tpt_22_sp_ip_CI_unitstride_sbrr_dirReg
	.globl	fft_rtc_back_len154_factors_11_7_2_wgs_110_tpt_22_sp_ip_CI_unitstride_sbrr_dirReg
	.p2align	8
	.type	fft_rtc_back_len154_factors_11_7_2_wgs_110_tpt_22_sp_ip_CI_unitstride_sbrr_dirReg,@function
fft_rtc_back_len154_factors_11_7_2_wgs_110_tpt_22_sp_ip_CI_unitstride_sbrr_dirReg: ; @fft_rtc_back_len154_factors_11_7_2_wgs_110_tpt_22_sp_ip_CI_unitstride_sbrr_dirReg
; %bb.0:
	s_load_dwordx4 s[8:11], s[4:5], 0x0
	v_mul_u32_u24_e32 v1, 0xba3, v0
	s_clause 0x1
	s_load_dwordx2 s[2:3], s[4:5], 0x50
	s_load_dwordx2 s[12:13], s[4:5], 0x18
	v_mov_b32_e32 v5, 0
	v_mov_b32_e32 v3, 0
	;; [unrolled: 1-line block ×3, first 2 shown]
	v_lshrrev_b32_e32 v1, 16, v1
	v_mad_u64_u32 v[1:2], null, s6, 5, v[1:2]
	v_mov_b32_e32 v2, v5
	v_mov_b32_e32 v10, v2
	;; [unrolled: 1-line block ×3, first 2 shown]
	s_waitcnt lgkmcnt(0)
	v_cmp_lt_u64_e64 s0, s[10:11], 2
	s_and_b32 vcc_lo, exec_lo, s0
	s_cbranch_vccnz .LBB0_8
; %bb.1:
	s_load_dwordx2 s[0:1], s[4:5], 0x10
	v_mov_b32_e32 v3, 0
	v_mov_b32_e32 v8, v2
	s_add_u32 s6, s12, 8
	v_mov_b32_e32 v4, 0
	v_mov_b32_e32 v7, v1
	s_addc_u32 s7, s13, 0
	s_mov_b64 s[16:17], 1
	s_waitcnt lgkmcnt(0)
	s_add_u32 s14, s0, 8
	s_addc_u32 s15, s1, 0
.LBB0_2:                                ; =>This Inner Loop Header: Depth=1
	s_load_dwordx2 s[18:19], s[14:15], 0x0
                                        ; implicit-def: $vgpr9_vgpr10
	s_mov_b32 s0, exec_lo
	s_waitcnt lgkmcnt(0)
	v_or_b32_e32 v6, s19, v8
	v_cmpx_ne_u64_e32 0, v[5:6]
	s_xor_b32 s1, exec_lo, s0
	s_cbranch_execz .LBB0_4
; %bb.3:                                ;   in Loop: Header=BB0_2 Depth=1
	v_cvt_f32_u32_e32 v2, s18
	v_cvt_f32_u32_e32 v6, s19
	s_sub_u32 s0, 0, s18
	s_subb_u32 s20, 0, s19
	v_fmac_f32_e32 v2, 0x4f800000, v6
	v_rcp_f32_e32 v2, v2
	v_mul_f32_e32 v2, 0x5f7ffffc, v2
	v_mul_f32_e32 v6, 0x2f800000, v2
	v_trunc_f32_e32 v6, v6
	v_fmac_f32_e32 v2, 0xcf800000, v6
	v_cvt_u32_f32_e32 v6, v6
	v_cvt_u32_f32_e32 v2, v2
	v_mul_lo_u32 v9, s0, v6
	v_mul_hi_u32 v10, s0, v2
	v_mul_lo_u32 v11, s20, v2
	v_add_nc_u32_e32 v9, v10, v9
	v_mul_lo_u32 v10, s0, v2
	v_add_nc_u32_e32 v9, v9, v11
	v_mul_hi_u32 v11, v2, v10
	v_mul_lo_u32 v12, v2, v9
	v_mul_hi_u32 v13, v2, v9
	v_mul_hi_u32 v14, v6, v10
	v_mul_lo_u32 v10, v6, v10
	v_mul_hi_u32 v15, v6, v9
	v_mul_lo_u32 v9, v6, v9
	v_add_co_u32 v11, vcc_lo, v11, v12
	v_add_co_ci_u32_e32 v12, vcc_lo, 0, v13, vcc_lo
	v_add_co_u32 v10, vcc_lo, v11, v10
	v_add_co_ci_u32_e32 v10, vcc_lo, v12, v14, vcc_lo
	v_add_co_ci_u32_e32 v11, vcc_lo, 0, v15, vcc_lo
	v_add_co_u32 v9, vcc_lo, v10, v9
	v_add_co_ci_u32_e32 v10, vcc_lo, 0, v11, vcc_lo
	v_add_co_u32 v2, vcc_lo, v2, v9
	v_add_co_ci_u32_e32 v6, vcc_lo, v6, v10, vcc_lo
	v_mul_hi_u32 v9, s0, v2
	v_mul_lo_u32 v11, s20, v2
	v_mul_lo_u32 v10, s0, v6
	v_add_nc_u32_e32 v9, v9, v10
	v_mul_lo_u32 v10, s0, v2
	v_add_nc_u32_e32 v9, v9, v11
	v_mul_hi_u32 v11, v2, v10
	v_mul_lo_u32 v12, v2, v9
	v_mul_hi_u32 v13, v2, v9
	v_mul_hi_u32 v14, v6, v10
	v_mul_lo_u32 v10, v6, v10
	v_mul_hi_u32 v15, v6, v9
	v_mul_lo_u32 v9, v6, v9
	v_add_co_u32 v11, vcc_lo, v11, v12
	v_add_co_ci_u32_e32 v12, vcc_lo, 0, v13, vcc_lo
	v_add_co_u32 v10, vcc_lo, v11, v10
	v_add_co_ci_u32_e32 v10, vcc_lo, v12, v14, vcc_lo
	v_add_co_ci_u32_e32 v11, vcc_lo, 0, v15, vcc_lo
	v_add_co_u32 v9, vcc_lo, v10, v9
	v_add_co_ci_u32_e32 v10, vcc_lo, 0, v11, vcc_lo
	v_add_co_u32 v2, vcc_lo, v2, v9
	v_add_co_ci_u32_e32 v6, vcc_lo, v6, v10, vcc_lo
	v_mul_hi_u32 v15, v7, v2
	v_mad_u64_u32 v[11:12], null, v8, v2, 0
	v_mad_u64_u32 v[9:10], null, v7, v6, 0
	v_mad_u64_u32 v[13:14], null, v8, v6, 0
	v_add_co_u32 v2, vcc_lo, v15, v9
	v_add_co_ci_u32_e32 v6, vcc_lo, 0, v10, vcc_lo
	v_add_co_u32 v2, vcc_lo, v2, v11
	v_add_co_ci_u32_e32 v2, vcc_lo, v6, v12, vcc_lo
	v_add_co_ci_u32_e32 v6, vcc_lo, 0, v14, vcc_lo
	v_add_co_u32 v2, vcc_lo, v2, v13
	v_add_co_ci_u32_e32 v6, vcc_lo, 0, v6, vcc_lo
	v_mul_lo_u32 v11, s19, v2
	v_mad_u64_u32 v[9:10], null, s18, v2, 0
	v_mul_lo_u32 v12, s18, v6
	v_sub_co_u32 v9, vcc_lo, v7, v9
	v_add3_u32 v10, v10, v12, v11
	v_sub_nc_u32_e32 v11, v8, v10
	v_subrev_co_ci_u32_e64 v11, s0, s19, v11, vcc_lo
	v_add_co_u32 v12, s0, v2, 2
	v_add_co_ci_u32_e64 v13, s0, 0, v6, s0
	v_sub_co_u32 v14, s0, v9, s18
	v_sub_co_ci_u32_e32 v10, vcc_lo, v8, v10, vcc_lo
	v_subrev_co_ci_u32_e64 v11, s0, 0, v11, s0
	v_cmp_le_u32_e32 vcc_lo, s18, v14
	v_cmp_eq_u32_e64 s0, s19, v10
	v_cndmask_b32_e64 v14, 0, -1, vcc_lo
	v_cmp_le_u32_e32 vcc_lo, s19, v11
	v_cndmask_b32_e64 v15, 0, -1, vcc_lo
	v_cmp_le_u32_e32 vcc_lo, s18, v9
	;; [unrolled: 2-line block ×3, first 2 shown]
	v_cndmask_b32_e64 v16, 0, -1, vcc_lo
	v_cmp_eq_u32_e32 vcc_lo, s19, v11
	v_cndmask_b32_e64 v9, v16, v9, s0
	v_cndmask_b32_e32 v11, v15, v14, vcc_lo
	v_add_co_u32 v14, vcc_lo, v2, 1
	v_add_co_ci_u32_e32 v15, vcc_lo, 0, v6, vcc_lo
	v_cmp_ne_u32_e32 vcc_lo, 0, v11
	v_cndmask_b32_e32 v10, v15, v13, vcc_lo
	v_cndmask_b32_e32 v11, v14, v12, vcc_lo
	v_cmp_ne_u32_e32 vcc_lo, 0, v9
	v_cndmask_b32_e32 v10, v6, v10, vcc_lo
	v_cndmask_b32_e32 v9, v2, v11, vcc_lo
.LBB0_4:                                ;   in Loop: Header=BB0_2 Depth=1
	s_andn2_saveexec_b32 s0, s1
	s_cbranch_execz .LBB0_6
; %bb.5:                                ;   in Loop: Header=BB0_2 Depth=1
	v_cvt_f32_u32_e32 v2, s18
	s_sub_i32 s1, 0, s18
	v_rcp_iflag_f32_e32 v2, v2
	v_mul_f32_e32 v2, 0x4f7ffffe, v2
	v_cvt_u32_f32_e32 v2, v2
	v_mul_lo_u32 v6, s1, v2
	v_mul_hi_u32 v6, v2, v6
	v_add_nc_u32_e32 v2, v2, v6
	v_mul_hi_u32 v2, v7, v2
	v_mul_lo_u32 v6, v2, s18
	v_add_nc_u32_e32 v9, 1, v2
	v_sub_nc_u32_e32 v6, v7, v6
	v_subrev_nc_u32_e32 v10, s18, v6
	v_cmp_le_u32_e32 vcc_lo, s18, v6
	v_cndmask_b32_e32 v6, v6, v10, vcc_lo
	v_cndmask_b32_e32 v2, v2, v9, vcc_lo
	v_mov_b32_e32 v10, v5
	v_cmp_le_u32_e32 vcc_lo, s18, v6
	v_add_nc_u32_e32 v9, 1, v2
	v_cndmask_b32_e32 v9, v2, v9, vcc_lo
.LBB0_6:                                ;   in Loop: Header=BB0_2 Depth=1
	s_or_b32 exec_lo, exec_lo, s0
	s_load_dwordx2 s[0:1], s[6:7], 0x0
	v_mul_lo_u32 v2, v10, s18
	v_mul_lo_u32 v6, v9, s19
	v_mad_u64_u32 v[11:12], null, v9, s18, 0
	s_add_u32 s16, s16, 1
	s_addc_u32 s17, s17, 0
	s_add_u32 s6, s6, 8
	s_addc_u32 s7, s7, 0
	;; [unrolled: 2-line block ×3, first 2 shown]
	v_add3_u32 v2, v12, v6, v2
	v_sub_co_u32 v6, vcc_lo, v7, v11
	v_sub_co_ci_u32_e32 v2, vcc_lo, v8, v2, vcc_lo
	s_waitcnt lgkmcnt(0)
	v_mul_lo_u32 v7, s1, v6
	v_mul_lo_u32 v2, s0, v2
	v_mad_u64_u32 v[3:4], null, s0, v6, v[3:4]
	v_cmp_ge_u64_e64 s0, s[16:17], s[10:11]
	s_and_b32 vcc_lo, exec_lo, s0
	v_add3_u32 v4, v7, v4, v2
	s_cbranch_vccnz .LBB0_8
; %bb.7:                                ;   in Loop: Header=BB0_2 Depth=1
	v_mov_b32_e32 v7, v9
	v_mov_b32_e32 v8, v10
	s_branch .LBB0_2
.LBB0_8:
	s_lshl_b64 s[0:1], s[10:11], 3
	v_mul_hi_u32 v2, 0xcccccccd, v1
	s_add_u32 s0, s12, s0
	s_addc_u32 s1, s13, s1
	s_load_dwordx2 s[4:5], s[4:5], 0x20
	s_load_dwordx2 s[0:1], s[0:1], 0x0
	v_mul_hi_u32 v5, 0xba2e8bb, v0
	v_lshrrev_b32_e32 v2, 2, v2
	v_lshl_add_u32 v6, v2, 2, v2
	v_sub_nc_u32_e32 v1, v1, v6
	s_waitcnt lgkmcnt(0)
	v_cmp_gt_u64_e32 vcc_lo, s[4:5], v[9:10]
	v_mul_lo_u32 v7, s0, v10
	v_mul_lo_u32 v8, s1, v9
	v_mad_u64_u32 v[2:3], null, s0, v9, v[3:4]
	v_mul_u32_u24_e32 v4, 22, v5
	v_mul_u32_u24_e32 v30, 0x9a, v1
	v_sub_nc_u32_e32 v26, v0, v4
	v_add3_u32 v3, v8, v3, v7
	v_lshlrev_b32_e32 v32, 3, v30
	v_lshlrev_b32_e32 v0, 3, v26
	v_lshlrev_b64 v[24:25], 3, v[2:3]
	s_and_saveexec_b32 s1, vcc_lo
	s_cbranch_execz .LBB0_10
; %bb.9:
	v_mov_b32_e32 v27, 0
	v_add_co_u32 v3, s0, s2, v24
	v_add_co_ci_u32_e64 v4, s0, s3, v25, s0
	v_lshlrev_b64 v[1:2], 3, v[26:27]
	v_add3_u32 v15, 0, v32, v0
	v_add_co_u32 v1, s0, v3, v1
	v_add_co_ci_u32_e64 v2, s0, v4, v2, s0
	s_clause 0x6
	global_load_dwordx2 v[3:4], v[1:2], off
	global_load_dwordx2 v[5:6], v[1:2], off offset:176
	global_load_dwordx2 v[7:8], v[1:2], off offset:352
	;; [unrolled: 1-line block ×6, first 2 shown]
	s_waitcnt vmcnt(5)
	ds_write2_b64 v15, v[3:4], v[5:6] offset1:22
	s_waitcnt vmcnt(3)
	ds_write2_b64 v15, v[7:8], v[9:10] offset0:44 offset1:66
	s_waitcnt vmcnt(1)
	ds_write2_b64 v15, v[11:12], v[13:14] offset0:88 offset1:110
	s_waitcnt vmcnt(0)
	ds_write_b64 v15, v[1:2] offset:1056
.LBB0_10:
	s_or_b32 exec_lo, exec_lo, s1
	v_add_nc_u32_e32 v31, 0, v0
	s_waitcnt lgkmcnt(0)
	s_barrier
	buffer_gl0_inv
	v_add3_u32 v28, 0, v32, v0
	v_add_nc_u32_e32 v29, v31, v32
	s_mov_b32 s1, exec_lo
	ds_read2_b64 v[20:23], v29 offset0:14 offset1:28
	ds_read2_b64 v[4:7], v29 offset0:126 offset1:140
	;; [unrolled: 1-line block ×5, first 2 shown]
	ds_read_b64 v[0:1], v28
	s_waitcnt lgkmcnt(0)
	s_barrier
	buffer_gl0_inv
	v_add_f32_e32 v46, v7, v21
	v_sub_f32_e32 v42, v21, v7
	v_add_f32_e32 v27, v6, v20
	v_sub_f32_e32 v40, v20, v6
	;; [unrolled: 2-line block ×3, first 2 shown]
	v_mul_f32_e32 v56, 0xbf4178ce, v42
	v_mul_f32_e32 v61, 0xbf27a4f4, v46
	v_add_f32_e32 v33, v4, v22
	v_sub_f32_e32 v35, v22, v4
	v_add_f32_e32 v48, v11, v17
	v_sub_f32_e32 v44, v17, v11
	v_mul_f32_e32 v55, 0x3f7d64f0, v43
	v_mul_f32_e32 v59, 0xbe11bafb, v47
	v_fma_f32 v2, 0xbf27a4f4, v27, -v56
	v_fmamk_f32 v3, v40, 0xbf4178ce, v61
	v_add_f32_e32 v36, v10, v16
	v_sub_f32_e32 v37, v16, v10
	v_add_f32_e32 v49, v9, v19
	v_sub_f32_e32 v45, v19, v9
	v_mul_f32_e32 v54, 0xbf0a6770, v44
	v_mul_f32_e32 v58, 0x3f575c64, v48
	v_fma_f32 v60, 0xbe11bafb, v33, -v55
	v_fmamk_f32 v62, v35, 0x3f7d64f0, v59
	v_add_f32_e32 v2, v0, v2
	v_add_f32_e32 v3, v1, v3
	;; [unrolled: 1-line block ×3, first 2 shown]
	v_sub_f32_e32 v39, v18, v8
	v_sub_f32_e32 v50, v13, v15
	v_add_f32_e32 v51, v15, v13
	v_mul_f32_e32 v52, 0xbe903f40, v45
	v_mul_f32_e32 v57, 0xbf75a155, v49
	v_fma_f32 v63, 0x3f575c64, v36, -v54
	v_fmamk_f32 v64, v37, 0xbf0a6770, v58
	v_add_f32_e32 v2, v60, v2
	v_add_f32_e32 v3, v62, v3
	;; [unrolled: 1-line block ×3, first 2 shown]
	v_sub_f32_e32 v41, v12, v14
	v_mul_f32_e32 v53, 0x3f68dda4, v50
	v_mul_f32_e32 v60, 0x3ed4b147, v51
	v_fma_f32 v62, 0xbf75a155, v38, -v52
	v_fmamk_f32 v65, v39, 0xbe903f40, v57
	v_add_f32_e32 v2, v63, v2
	v_add_f32_e32 v3, v64, v3
	v_fma_f32 v63, 0x3ed4b147, v34, -v53
	v_fmamk_f32 v64, v41, 0x3f68dda4, v60
	v_add_f32_e32 v2, v62, v2
	v_add_f32_e32 v3, v65, v3
	;; [unrolled: 1-line block ×4, first 2 shown]
	v_cmpx_gt_u32_e32 14, v26
	s_cbranch_execz .LBB0_12
; %bb.11:
	v_mul_f32_e32 v62, 0xbe903f40, v40
	v_mul_f32_e32 v63, 0x3f0a6770, v35
	;; [unrolled: 1-line block ×5, first 2 shown]
	v_fmamk_f32 v67, v46, 0xbf75a155, v62
	v_fmamk_f32 v70, v47, 0x3f575c64, v63
	v_fma_f32 v71, 0xbf75a155, v27, -v66
	v_fmamk_f32 v73, v48, 0xbf27a4f4, v68
	v_fma_f32 v74, 0x3f575c64, v33, -v69
	v_add_f32_e32 v67, v1, v67
	v_mul_f32_e32 v72, 0xbf4178ce, v44
	v_add_f32_e32 v71, v0, v71
	v_fma_f32 v62, 0xbf75a155, v46, -v62
	v_mul_f32_e32 v65, 0xbf4178ce, v40
	v_add_f32_e32 v67, v70, v67
	v_mul_f32_e32 v70, 0x3f68dda4, v39
	v_add_f32_e32 v71, v74, v71
	v_mul_f32_e32 v74, 0xbf7d64f0, v41
	v_mul_f32_e32 v75, 0x3f68dda4, v45
	v_add_f32_e32 v67, v73, v67
	v_fmamk_f32 v73, v49, 0x3ed4b147, v70
	v_fma_f32 v76, 0xbf27a4f4, v36, -v72
	v_add_f32_e32 v62, v1, v62
	v_fma_f32 v63, 0x3f575c64, v47, -v63
	v_mul_f32_e32 v64, 0xbf27a4f4, v27
	v_add_f32_e32 v67, v73, v67
	v_fmamk_f32 v73, v51, 0xbe11bafb, v74
	v_add_f32_e32 v71, v76, v71
	v_fma_f32 v76, 0x3ed4b147, v38, -v75
	v_mul_f32_e32 v77, 0xbf7d64f0, v50
	v_add_f32_e32 v78, v63, v62
	v_add_f32_e32 v63, v73, v67
	v_mul_f32_e32 v67, 0x3f7d64f0, v35
	v_sub_f32_e32 v61, v61, v65
	v_add_f32_e32 v71, v76, v71
	v_fma_f32 v76, 0xbe11bafb, v34, -v77
	v_mul_f32_e32 v79, 0xbe11bafb, v33
	v_fma_f32 v68, 0xbf27a4f4, v48, -v68
	v_fmac_f32_e32 v66, 0xbf75a155, v27
	v_add_f32_e32 v61, v1, v61
	v_sub_f32_e32 v59, v59, v67
	v_add_f32_e32 v56, v64, v56
	v_add_f32_e32 v62, v76, v71
	;; [unrolled: 1-line block ×3, first 2 shown]
	v_fma_f32 v70, 0x3ed4b147, v49, -v70
	v_mul_f32_e32 v71, 0x3f575c64, v36
	v_mul_f32_e32 v73, 0xbf0a6770, v37
	v_add_f32_e32 v66, v0, v66
	v_fmac_f32_e32 v69, 0x3f575c64, v33
	v_add_f32_e32 v59, v59, v61
	v_add_f32_e32 v56, v0, v56
	;; [unrolled: 1-line block ×4, first 2 shown]
	v_mul_f32_e32 v70, 0xbf75a155, v38
	v_mul_f32_e32 v65, 0xbe903f40, v39
	v_add_f32_e32 v66, v69, v66
	v_fmac_f32_e32 v72, 0xbf27a4f4, v36
	v_sub_f32_e32 v58, v58, v73
	v_add_f32_e32 v56, v61, v56
	v_add_f32_e32 v54, v71, v54
	v_mul_f32_e32 v69, 0x3ed4b147, v34
	v_mul_f32_e32 v67, 0x3f68dda4, v41
	v_add_f32_e32 v64, v72, v66
	v_fmac_f32_e32 v75, 0x3ed4b147, v38
	v_add_f32_e32 v58, v58, v59
	v_sub_f32_e32 v57, v57, v65
	v_add_f32_e32 v56, v54, v56
	v_add_f32_e32 v52, v70, v52
	;; [unrolled: 1-line block ×3, first 2 shown]
	v_fmac_f32_e32 v77, 0xbe11bafb, v34
	v_add_f32_e32 v57, v57, v58
	v_sub_f32_e32 v58, v60, v67
	v_mul_f32_e32 v60, 0xbe11bafb, v46
	v_add_f32_e32 v52, v52, v56
	v_add_f32_e32 v53, v69, v53
	v_mul_f32_e32 v61, 0xbf7d64f0, v42
	v_fma_f32 v74, 0xbe11bafb, v51, -v74
	v_add_f32_e32 v54, v77, v59
	v_add_f32_e32 v57, v58, v57
	v_fmamk_f32 v58, v40, 0x3f7d64f0, v60
	v_mul_f32_e32 v59, 0xbf75a155, v47
	v_add_f32_e32 v56, v53, v52
	v_fmamk_f32 v52, v27, 0xbe11bafb, v61
	v_mul_f32_e32 v53, 0x3e903f40, v43
	v_add_f32_e32 v55, v74, v68
	v_add_f32_e32 v58, v1, v58
	v_fmamk_f32 v64, v35, 0xbe903f40, v59
	v_mul_f32_e32 v65, 0x3ed4b147, v48
	v_add_f32_e32 v52, v0, v52
	v_fmamk_f32 v67, v33, 0xbf75a155, v53
	v_mul_f32_e32 v68, 0x3f68dda4, v44
	v_mul_f32_e32 v71, 0x3ed4b147, v46
	v_add_f32_e32 v58, v64, v58
	v_fmamk_f32 v64, v37, 0xbf68dda4, v65
	v_mul_f32_e32 v66, 0x3f575c64, v49
	v_add_f32_e32 v52, v67, v52
	v_fmamk_f32 v67, v36, 0x3ed4b147, v68
	v_mul_f32_e32 v70, 0xbf0a6770, v45
	v_fmamk_f32 v72, v40, 0x3f68dda4, v71
	v_mul_f32_e32 v73, 0xbf27a4f4, v47
	v_add_f32_e32 v58, v64, v58
	v_fmamk_f32 v64, v39, 0x3f0a6770, v66
	v_mul_f32_e32 v69, 0xbf27a4f4, v51
	v_add_f32_e32 v52, v67, v52
	v_fmamk_f32 v67, v38, 0x3f575c64, v70
	v_add_f32_e32 v21, v1, v21
	v_add_f32_e32 v20, v0, v20
	v_mul_f32_e32 v74, 0xbf4178ce, v50
	v_add_f32_e32 v72, v1, v72
	v_fmamk_f32 v75, v35, 0x3f4178ce, v73
	v_mul_f32_e32 v76, 0xbf75a155, v48
	v_mul_f32_e32 v77, 0xbf68dda4, v42
	v_add_f32_e32 v58, v64, v58
	v_fmamk_f32 v64, v41, 0x3f4178ce, v69
	v_add_f32_e32 v23, v21, v23
	v_add_f32_e32 v22, v20, v22
	;; [unrolled: 1-line block ×3, first 2 shown]
	v_fmamk_f32 v52, v34, 0xbf27a4f4, v74
	v_add_f32_e32 v67, v75, v72
	v_fmamk_f32 v72, v37, 0xbe903f40, v76
	v_fmamk_f32 v75, v27, 0x3ed4b147, v77
	v_mul_f32_e32 v78, 0xbf4178ce, v43
	v_add_f32_e32 v21, v64, v58
	v_add_f32_e32 v20, v52, v20
	;; [unrolled: 1-line block ×4, first 2 shown]
	v_fmamk_f32 v64, v33, 0xbf27a4f4, v78
	v_mul_f32_e32 v67, 0x3e903f40, v44
	v_add_f32_e32 v17, v23, v17
	v_add_f32_e32 v16, v22, v16
	v_mul_f32_e32 v22, 0xbe11bafb, v49
	v_add_f32_e32 v23, v64, v58
	v_fmamk_f32 v58, v36, 0xbf75a155, v67
	v_add_f32_e32 v17, v17, v19
	v_mul_f32_e32 v19, 0x3f7d64f0, v45
	v_mul_f32_e32 v46, 0x3f575c64, v46
	v_add_f32_e32 v18, v16, v18
	v_fmamk_f32 v16, v39, 0xbf7d64f0, v22
	v_mul_f32_e32 v64, 0x3f575c64, v51
	v_add_f32_e32 v23, v58, v23
	v_fmamk_f32 v58, v38, 0xbe11bafb, v19
	v_fmamk_f32 v72, v40, 0x3f0a6770, v46
	v_mul_f32_e32 v47, 0x3ed4b147, v47
	v_add_f32_e32 v16, v16, v52
	v_fmamk_f32 v52, v41, 0xbf0a6770, v64
	v_add_f32_e32 v23, v58, v23
	v_add_f32_e32 v58, v1, v72
	v_fmamk_f32 v72, v35, 0x3f68dda4, v47
	v_mul_f32_e32 v48, 0xbe11bafb, v48
	v_add_f32_e32 v13, v17, v13
	v_add_f32_e32 v12, v18, v12
	v_mul_f32_e32 v18, 0xbf0a6770, v42
	v_add_f32_e32 v16, v52, v16
	v_add_f32_e32 v52, v72, v58
	v_fmamk_f32 v17, v37, 0x3f7d64f0, v48
	v_mul_f32_e32 v42, 0xbf27a4f4, v49
	v_add_f32_e32 v13, v13, v15
	v_fmamk_f32 v15, v27, 0x3f575c64, v18
	v_mul_f32_e32 v43, 0xbf68dda4, v43
	v_add_f32_e32 v12, v12, v14
	v_mul_f32_e32 v14, 0x3f0a6770, v50
	v_add_f32_e32 v17, v17, v52
	v_fmamk_f32 v49, v39, 0x3f4178ce, v42
	v_mul_f32_e32 v51, 0xbf75a155, v51
	v_add_f32_e32 v15, v0, v15
	v_fmamk_f32 v52, v33, 0x3ed4b147, v43
	v_mul_f32_e32 v44, 0xbf7d64f0, v44
	v_fmamk_f32 v58, v34, 0x3f575c64, v14
	v_add_f32_e32 v17, v49, v17
	v_fmamk_f32 v49, v41, 0x3e903f40, v51
	v_add_f32_e32 v52, v52, v15
	v_fmamk_f32 v72, v36, 0xbe11bafb, v44
	v_mul_f32_e32 v45, 0xbf4178ce, v45
	v_add_f32_e32 v15, v58, v23
	v_add_f32_e32 v13, v13, v9
	;; [unrolled: 1-line block ×4, first 2 shown]
	v_fmamk_f32 v23, v38, 0xbf27a4f4, v45
	v_mul_f32_e32 v49, 0xbe903f40, v50
	v_add_f32_e32 v11, v13, v11
	v_add_f32_e32 v8, v12, v8
	v_fmac_f32_e32 v60, 0xbf7d64f0, v40
	v_add_f32_e32 v12, v23, v17
	v_fmamk_f32 v13, v34, 0xbf75a155, v49
	v_add_f32_e32 v5, v11, v5
	v_add_f32_e32 v10, v8, v10
	v_add_f32_e32 v11, v1, v60
	v_fmac_f32_e32 v59, 0x3e903f40, v35
	v_add_f32_e32 v8, v13, v12
	v_fma_f32 v12, 0xbe11bafb, v27, -v61
	v_add_f32_e32 v5, v5, v7
	v_add_f32_e32 v4, v10, v4
	;; [unrolled: 1-line block ×3, first 2 shown]
	v_fmac_f32_e32 v65, 0x3f68dda4, v37
	v_add_f32_e32 v10, v0, v12
	v_fma_f32 v11, 0xbf75a155, v33, -v53
	v_fmac_f32_e32 v71, 0xbf68dda4, v40
	v_add_f32_e32 v4, v4, v6
	v_add_f32_e32 v6, v65, v7
	v_fmac_f32_e32 v66, 0xbf0a6770, v39
	v_add_f32_e32 v7, v11, v10
	v_fma_f32 v10, 0x3ed4b147, v36, -v68
	v_add_f32_e32 v11, v1, v71
	v_fmac_f32_e32 v73, 0xbf4178ce, v35
	v_add_f32_e32 v6, v66, v6
	v_fmac_f32_e32 v69, 0xbf4178ce, v41
	v_add_f32_e32 v10, v10, v7
	v_fma_f32 v12, 0x3f575c64, v38, -v70
	v_add_f32_e32 v11, v73, v11
	v_fmac_f32_e32 v76, 0x3e903f40, v37
	v_add_f32_e32 v7, v69, v6
	v_fma_f32 v6, 0x3ed4b147, v27, -v77
	v_add_f32_e32 v10, v12, v10
	v_fma_f32 v12, 0xbf27a4f4, v34, -v74
	v_add_f32_e32 v11, v76, v11
	v_fmac_f32_e32 v22, 0x3f7d64f0, v39
	v_add_f32_e32 v13, v0, v6
	v_fma_f32 v17, 0xbf27a4f4, v33, -v78
	v_add_f32_e32 v6, v12, v10
	v_fmac_f32_e32 v46, 0xbf0a6770, v40
	v_add_f32_e32 v10, v22, v11
	v_fma_f32 v11, 0x3f575c64, v27, -v18
	v_add_f32_e32 v12, v17, v13
	v_fma_f32 v13, 0xbf75a155, v36, -v67
	v_add_f32_e32 v1, v1, v46
	v_fmac_f32_e32 v47, 0xbf68dda4, v35
	v_add_f32_e32 v0, v0, v11
	v_fma_f32 v11, 0x3ed4b147, v33, -v43
	;; [unrolled: 6-line block ×3, first 2 shown]
	v_add_f32_e32 v12, v13, v12
	v_fmac_f32_e32 v42, 0xbf4178ce, v39
	v_add_f32_e32 v1, v48, v1
	v_fma_f32 v13, 0x3f575c64, v34, -v14
	v_add_f32_e32 v0, v11, v0
	v_fma_f32 v11, 0xbf27a4f4, v38, -v45
	v_mul_u32_u24_e32 v14, 0x50, v26
	v_fmac_f32_e32 v64, 0x3f0a6770, v41
	v_add_f32_e32 v17, v42, v1
	v_fmac_f32_e32 v51, 0xbe903f40, v41
	v_add_f32_e32 v18, v11, v0
	v_fma_f32 v19, 0xbf75a155, v34, -v49
	v_add3_u32 v14, v31, v14, v32
	v_add_f32_e32 v1, v64, v10
	v_add_f32_e32 v0, v13, v12
	;; [unrolled: 1-line block ×4, first 2 shown]
	ds_write2_b64 v14, v[4:5], v[8:9] offset1:1
	ds_write2_b64 v14, v[15:16], v[20:21] offset0:2 offset1:3
	ds_write2_b64 v14, v[56:57], v[54:55] offset0:4 offset1:5
	;; [unrolled: 1-line block ×4, first 2 shown]
	ds_write_b64 v14, v[10:11] offset:80
.LBB0_12:
	s_or_b32 exec_lo, exec_lo, s1
	v_add_nc_u32_e32 v12, -11, v26
	v_cmp_gt_u32_e64 s0, 11, v26
	v_mov_b32_e32 v14, 0
	s_waitcnt lgkmcnt(0)
	s_barrier
	buffer_gl0_inv
	v_cndmask_b32_e64 v23, v12, v26, s0
	v_mul_i32_i24_e32 v13, 6, v23
	v_lshlrev_b32_e32 v23, 3, v23
	v_lshlrev_b64 v[0:1], 3, v[13:14]
	v_add_co_u32 v0, s1, s8, v0
	v_add_co_ci_u32_e64 v1, s1, s9, v1, s1
	v_cmp_lt_u32_e64 s1, 10, v26
	s_clause 0x2
	global_load_dwordx4 v[4:7], v[0:1], off
	global_load_dwordx4 v[8:11], v[0:1], off offset:16
	global_load_dwordx4 v[15:18], v[0:1], off offset:32
	ds_read2_b64 v[19:22], v29 offset0:22 offset1:44
	ds_read2_b64 v[33:36], v29 offset0:66 offset1:88
	;; [unrolled: 1-line block ×3, first 2 shown]
	v_cndmask_b32_e64 v0, 0, 0x268, s1
	v_add_nc_u32_e32 v13, 0, v0
	ds_read_b64 v[0:1], v28
	s_waitcnt vmcnt(0) lgkmcnt(0)
	s_barrier
	buffer_gl0_inv
	v_add3_u32 v13, v13, v23, v32
	v_mul_f32_e32 v23, v5, v20
	v_mul_f32_e32 v5, v5, v19
	;; [unrolled: 1-line block ×12, first 2 shown]
	v_fmac_f32_e32 v23, v4, v19
	v_fma_f32 v4, v4, v20, -v5
	v_fmac_f32_e32 v27, v6, v21
	v_fma_f32 v5, v6, v22, -v7
	v_fma_f32 v6, v8, v34, -v9
	v_fmac_f32_e32 v43, v17, v39
	v_fma_f32 v7, v17, v40, -v18
	v_fmac_f32_e32 v42, v15, v37
	v_fma_f32 v9, v15, v38, -v16
	v_fmac_f32_e32 v32, v8, v33
	v_fmac_f32_e32 v41, v10, v35
	v_fma_f32 v8, v10, v36, -v11
	v_add_f32_e32 v10, v23, v43
	v_add_f32_e32 v11, v4, v7
	v_sub_f32_e32 v4, v4, v7
	v_add_f32_e32 v7, v27, v42
	v_add_f32_e32 v16, v5, v9
	v_sub_f32_e32 v17, v27, v42
	v_sub_f32_e32 v5, v5, v9
	v_add_f32_e32 v9, v32, v41
	v_add_f32_e32 v18, v6, v8
	v_sub_f32_e32 v19, v41, v32
	;; [unrolled: 4-line block ×3, first 2 shown]
	v_sub_f32_e32 v21, v7, v10
	v_sub_f32_e32 v22, v16, v11
	;; [unrolled: 1-line block ×6, first 2 shown]
	v_add_f32_e32 v23, v19, v17
	v_add_f32_e32 v27, v6, v5
	v_sub_f32_e32 v32, v19, v17
	v_sub_f32_e32 v33, v6, v5
	;; [unrolled: 1-line block ×3, first 2 shown]
	v_add_f32_e32 v8, v9, v8
	v_add_f32_e32 v9, v18, v20
	v_sub_f32_e32 v17, v17, v15
	v_sub_f32_e32 v19, v15, v19
	;; [unrolled: 1-line block ×3, first 2 shown]
	v_add_f32_e32 v15, v23, v15
	v_add_f32_e32 v18, v27, v4
	v_mul_f32_e32 v10, 0x3f4a47b2, v10
	v_mul_f32_e32 v11, 0x3f4a47b2, v11
	;; [unrolled: 1-line block ×7, first 2 shown]
	v_add_f32_e32 v4, v8, v0
	v_add_f32_e32 v5, v9, v1
	v_mul_f32_e32 v33, 0xbf5ff5aa, v17
	v_fmamk_f32 v0, v7, 0x3d64c772, v10
	v_fmamk_f32 v1, v16, 0x3d64c772, v11
	v_fma_f32 v7, 0x3f3bfb3b, v21, -v20
	v_fma_f32 v16, 0x3f3bfb3b, v22, -v23
	;; [unrolled: 1-line block ×3, first 2 shown]
	v_fmamk_f32 v20, v19, 0xbeae86e6, v27
	v_fmamk_f32 v21, v6, 0xbeae86e6, v32
	v_fma_f32 v23, 0x3eae86e6, v6, -v35
	v_fmamk_f32 v6, v8, 0xbf955555, v4
	v_fmamk_f32 v8, v9, 0xbf955555, v5
	v_fma_f32 v11, 0xbf3bfb3b, v22, -v11
	v_fma_f32 v17, 0xbf5ff5aa, v17, -v27
	;; [unrolled: 1-line block ×4, first 2 shown]
	v_fmac_f32_e32 v20, 0xbee1c552, v15
	v_fmac_f32_e32 v21, 0xbee1c552, v18
	v_add_f32_e32 v0, v0, v6
	v_add_f32_e32 v1, v1, v8
	v_fmac_f32_e32 v17, 0xbee1c552, v15
	v_fmac_f32_e32 v22, 0xbee1c552, v18
	;; [unrolled: 1-line block ×4, first 2 shown]
	v_add_f32_e32 v15, v7, v6
	v_add_f32_e32 v18, v10, v6
	;; [unrolled: 1-line block ×5, first 2 shown]
	v_sub_f32_e32 v7, v1, v20
	v_add_f32_e32 v8, v23, v18
	v_sub_f32_e32 v9, v27, v19
	v_sub_f32_e32 v10, v15, v22
	v_add_f32_e32 v11, v17, v16
	v_add_f32_e32 v15, v22, v15
	v_sub_f32_e32 v16, v16, v17
	v_sub_f32_e32 v17, v18, v23
	v_add_f32_e32 v18, v19, v27
	v_sub_f32_e32 v0, v0, v21
	v_add_f32_e32 v1, v20, v1
	ds_write2_b64 v13, v[4:5], v[6:7] offset1:11
	ds_write2_b64 v13, v[8:9], v[10:11] offset0:22 offset1:33
	ds_write2_b64 v13, v[15:16], v[17:18] offset0:44 offset1:55
	ds_write_b64 v13, v[0:1] offset:528
	s_waitcnt lgkmcnt(0)
	s_barrier
	buffer_gl0_inv
	ds_read2_b64 v[8:11], v29 offset0:77 offset1:99
	ds_read2_b64 v[4:7], v29 offset0:22 offset1:44
	ds_read_b64 v[16:17], v28
	ds_read_b64 v[18:19], v29 offset:968
	s_and_saveexec_b32 s1, s0
	s_cbranch_execz .LBB0_14
; %bb.13:
	ds_read2_b64 v[0:3], v29 offset0:66 offset1:143
	v_add_nc_u32_e32 v12, 0x42, v26
.LBB0_14:
	s_or_b32 exec_lo, exec_lo, s1
	v_mov_b32_e32 v27, v14
	v_lshl_add_u32 v13, v30, 3, v31
	v_lshlrev_b64 v[14:15], 3, v[26:27]
	v_add_co_u32 v20, s1, s8, v14
	v_add_co_ci_u32_e64 v21, s1, s9, v15, s1
	s_clause 0x2
	global_load_dwordx2 v[22:23], v[20:21], off offset:528
	global_load_dwordx2 v[26:27], v[20:21], off offset:704
	;; [unrolled: 1-line block ×3, first 2 shown]
	s_waitcnt vmcnt(0) lgkmcnt(0)
	s_barrier
	buffer_gl0_inv
	v_mul_f32_e32 v30, v23, v9
	v_mul_f32_e32 v23, v23, v8
	;; [unrolled: 1-line block ×6, first 2 shown]
	v_fmac_f32_e32 v30, v22, v8
	v_fma_f32 v9, v22, v9, -v23
	v_fmac_f32_e32 v31, v26, v10
	v_fma_f32 v11, v26, v11, -v27
	;; [unrolled: 2-line block ×3, first 2 shown]
	v_sub_f32_e32 v8, v16, v30
	v_sub_f32_e32 v9, v17, v9
	;; [unrolled: 1-line block ×6, first 2 shown]
	v_fma_f32 v16, v16, 2.0, -v8
	v_fma_f32 v17, v17, 2.0, -v9
	;; [unrolled: 1-line block ×6, first 2 shown]
	ds_write2_b64 v29, v[16:17], v[4:5] offset1:22
	ds_write2_b64 v29, v[6:7], v[8:9] offset0:44 offset1:77
	ds_write2_b64 v13, v[10:11], v[18:19] offset0:99 offset1:121
	s_and_saveexec_b32 s1, s0
	s_cbranch_execz .LBB0_16
; %bb.15:
	v_mov_b32_e32 v13, 0
	v_lshlrev_b64 v[4:5], 3, v[12:13]
	v_add_co_u32 v4, s0, s8, v4
	v_add_co_ci_u32_e64 v5, s0, s9, v5, s0
	global_load_dwordx2 v[4:5], v[4:5], off offset:528
	s_waitcnt vmcnt(0)
	v_mul_f32_e32 v6, v2, v5
	v_mul_f32_e32 v5, v3, v5
	v_fma_f32 v3, v3, v4, -v6
	v_fmac_f32_e32 v5, v2, v4
	v_sub_f32_e32 v3, v1, v3
	v_sub_f32_e32 v2, v0, v5
	v_fma_f32 v1, v1, 2.0, -v3
	v_fma_f32 v0, v0, 2.0, -v2
	ds_write2_b64 v29, v[0:1], v[2:3] offset0:66 offset1:143
.LBB0_16:
	s_or_b32 exec_lo, exec_lo, s1
	s_waitcnt lgkmcnt(0)
	s_barrier
	buffer_gl0_inv
	s_and_saveexec_b32 s0, vcc_lo
	s_cbranch_execz .LBB0_18
; %bb.17:
	ds_read2_b64 v[0:3], v28 offset1:22
	ds_read2_b64 v[4:7], v28 offset0:44 offset1:66
	ds_read2_b64 v[8:11], v28 offset0:88 offset1:110
	ds_read_b64 v[12:13], v28 offset:1056
	v_add_co_u32 v16, vcc_lo, s2, v24
	v_add_co_ci_u32_e32 v17, vcc_lo, s3, v25, vcc_lo
	v_add_co_u32 v14, vcc_lo, v16, v14
	v_add_co_ci_u32_e32 v15, vcc_lo, v17, v15, vcc_lo
	s_waitcnt lgkmcnt(3)
	global_store_dwordx2 v[14:15], v[0:1], off
	global_store_dwordx2 v[14:15], v[2:3], off offset:176
	s_waitcnt lgkmcnt(2)
	global_store_dwordx2 v[14:15], v[4:5], off offset:352
	global_store_dwordx2 v[14:15], v[6:7], off offset:528
	s_waitcnt lgkmcnt(1)
	global_store_dwordx2 v[14:15], v[8:9], off offset:704
	;; [unrolled: 3-line block ×3, first 2 shown]
.LBB0_18:
	s_endpgm
	.section	.rodata,"a",@progbits
	.p2align	6, 0x0
	.amdhsa_kernel fft_rtc_back_len154_factors_11_7_2_wgs_110_tpt_22_sp_ip_CI_unitstride_sbrr_dirReg
		.amdhsa_group_segment_fixed_size 0
		.amdhsa_private_segment_fixed_size 0
		.amdhsa_kernarg_size 88
		.amdhsa_user_sgpr_count 6
		.amdhsa_user_sgpr_private_segment_buffer 1
		.amdhsa_user_sgpr_dispatch_ptr 0
		.amdhsa_user_sgpr_queue_ptr 0
		.amdhsa_user_sgpr_kernarg_segment_ptr 1
		.amdhsa_user_sgpr_dispatch_id 0
		.amdhsa_user_sgpr_flat_scratch_init 0
		.amdhsa_user_sgpr_private_segment_size 0
		.amdhsa_wavefront_size32 1
		.amdhsa_uses_dynamic_stack 0
		.amdhsa_system_sgpr_private_segment_wavefront_offset 0
		.amdhsa_system_sgpr_workgroup_id_x 1
		.amdhsa_system_sgpr_workgroup_id_y 0
		.amdhsa_system_sgpr_workgroup_id_z 0
		.amdhsa_system_sgpr_workgroup_info 0
		.amdhsa_system_vgpr_workitem_id 0
		.amdhsa_next_free_vgpr 80
		.amdhsa_next_free_sgpr 21
		.amdhsa_reserve_vcc 1
		.amdhsa_reserve_flat_scratch 0
		.amdhsa_float_round_mode_32 0
		.amdhsa_float_round_mode_16_64 0
		.amdhsa_float_denorm_mode_32 3
		.amdhsa_float_denorm_mode_16_64 3
		.amdhsa_dx10_clamp 1
		.amdhsa_ieee_mode 1
		.amdhsa_fp16_overflow 0
		.amdhsa_workgroup_processor_mode 1
		.amdhsa_memory_ordered 1
		.amdhsa_forward_progress 0
		.amdhsa_shared_vgpr_count 0
		.amdhsa_exception_fp_ieee_invalid_op 0
		.amdhsa_exception_fp_denorm_src 0
		.amdhsa_exception_fp_ieee_div_zero 0
		.amdhsa_exception_fp_ieee_overflow 0
		.amdhsa_exception_fp_ieee_underflow 0
		.amdhsa_exception_fp_ieee_inexact 0
		.amdhsa_exception_int_div_zero 0
	.end_amdhsa_kernel
	.text
.Lfunc_end0:
	.size	fft_rtc_back_len154_factors_11_7_2_wgs_110_tpt_22_sp_ip_CI_unitstride_sbrr_dirReg, .Lfunc_end0-fft_rtc_back_len154_factors_11_7_2_wgs_110_tpt_22_sp_ip_CI_unitstride_sbrr_dirReg
                                        ; -- End function
	.section	.AMDGPU.csdata,"",@progbits
; Kernel info:
; codeLenInByte = 4828
; NumSgprs: 23
; NumVgprs: 80
; ScratchSize: 0
; MemoryBound: 0
; FloatMode: 240
; IeeeMode: 1
; LDSByteSize: 0 bytes/workgroup (compile time only)
; SGPRBlocks: 2
; VGPRBlocks: 9
; NumSGPRsForWavesPerEU: 23
; NumVGPRsForWavesPerEU: 80
; Occupancy: 12
; WaveLimiterHint : 1
; COMPUTE_PGM_RSRC2:SCRATCH_EN: 0
; COMPUTE_PGM_RSRC2:USER_SGPR: 6
; COMPUTE_PGM_RSRC2:TRAP_HANDLER: 0
; COMPUTE_PGM_RSRC2:TGID_X_EN: 1
; COMPUTE_PGM_RSRC2:TGID_Y_EN: 0
; COMPUTE_PGM_RSRC2:TGID_Z_EN: 0
; COMPUTE_PGM_RSRC2:TIDIG_COMP_CNT: 0
	.text
	.p2alignl 6, 3214868480
	.fill 48, 4, 3214868480
	.type	__hip_cuid_e59b1be2f08027b8,@object ; @__hip_cuid_e59b1be2f08027b8
	.section	.bss,"aw",@nobits
	.globl	__hip_cuid_e59b1be2f08027b8
__hip_cuid_e59b1be2f08027b8:
	.byte	0                               ; 0x0
	.size	__hip_cuid_e59b1be2f08027b8, 1

	.ident	"AMD clang version 19.0.0git (https://github.com/RadeonOpenCompute/llvm-project roc-6.4.0 25133 c7fe45cf4b819c5991fe208aaa96edf142730f1d)"
	.section	".note.GNU-stack","",@progbits
	.addrsig
	.addrsig_sym __hip_cuid_e59b1be2f08027b8
	.amdgpu_metadata
---
amdhsa.kernels:
  - .args:
      - .actual_access:  read_only
        .address_space:  global
        .offset:         0
        .size:           8
        .value_kind:     global_buffer
      - .offset:         8
        .size:           8
        .value_kind:     by_value
      - .actual_access:  read_only
        .address_space:  global
        .offset:         16
        .size:           8
        .value_kind:     global_buffer
      - .actual_access:  read_only
        .address_space:  global
        .offset:         24
        .size:           8
        .value_kind:     global_buffer
      - .offset:         32
        .size:           8
        .value_kind:     by_value
      - .actual_access:  read_only
        .address_space:  global
        .offset:         40
        .size:           8
        .value_kind:     global_buffer
      - .actual_access:  read_only
        .address_space:  global
        .offset:         48
        .size:           8
        .value_kind:     global_buffer
      - .offset:         56
        .size:           4
        .value_kind:     by_value
      - .actual_access:  read_only
        .address_space:  global
        .offset:         64
        .size:           8
        .value_kind:     global_buffer
      - .actual_access:  read_only
        .address_space:  global
        .offset:         72
        .size:           8
        .value_kind:     global_buffer
      - .address_space:  global
        .offset:         80
        .size:           8
        .value_kind:     global_buffer
    .group_segment_fixed_size: 0
    .kernarg_segment_align: 8
    .kernarg_segment_size: 88
    .language:       OpenCL C
    .language_version:
      - 2
      - 0
    .max_flat_workgroup_size: 110
    .name:           fft_rtc_back_len154_factors_11_7_2_wgs_110_tpt_22_sp_ip_CI_unitstride_sbrr_dirReg
    .private_segment_fixed_size: 0
    .sgpr_count:     23
    .sgpr_spill_count: 0
    .symbol:         fft_rtc_back_len154_factors_11_7_2_wgs_110_tpt_22_sp_ip_CI_unitstride_sbrr_dirReg.kd
    .uniform_work_group_size: 1
    .uses_dynamic_stack: false
    .vgpr_count:     80
    .vgpr_spill_count: 0
    .wavefront_size: 32
    .workgroup_processor_mode: 1
amdhsa.target:   amdgcn-amd-amdhsa--gfx1030
amdhsa.version:
  - 1
  - 2
...

	.end_amdgpu_metadata
